;; amdgpu-corpus repo=zjin-lcf/HeCBench kind=compiled arch=gfx1250 opt=O3
	.amdgcn_target "amdgcn-amd-amdhsa--gfx1250"
	.amdhsa_code_object_version 6
	.text
	.protected	_Z4rtm8PKfS0_S0_PfS1_S1_S0_m ; -- Begin function _Z4rtm8PKfS0_S0_PfS1_S1_S0_m
	.globl	_Z4rtm8PKfS0_S0_PfS1_S1_S0_m
	.p2align	8
	.type	_Z4rtm8PKfS0_S0_PfS1_S1_S0_m,@function
_Z4rtm8PKfS0_S0_PfS1_S1_S0_m:           ; @_Z4rtm8PKfS0_S0_PfS1_S1_S0_m
; %bb.0:
	s_load_b64 s[2:3], s[0:1], 0x4c
	s_bfe_u32 s8, ttmp6, 0x40014
	s_bfe_u32 s5, ttmp6, 0x40010
	;; [unrolled: 1-line block ×3, first 2 shown]
	s_lshr_b32 s7, ttmp7, 16
	s_add_co_i32 s8, s8, 1
	s_and_b32 s4, ttmp7, 0xffff
	s_add_co_i32 s5, s5, 1
	s_add_co_i32 s11, s11, 1
	s_bfe_u32 s9, ttmp6, 0x40008
	s_mul_i32 s8, s7, s8
	s_bfe_u32 s6, ttmp6, 0x40004
	s_and_b32 s10, ttmp6, 15
	s_mul_i32 s5, s4, s5
	s_mul_i32 s11, ttmp9, s11
	s_add_co_i32 s9, s9, s8
	s_getreg_b32 s8, hwreg(HW_REG_IB_STS2, 6, 4)
	s_add_co_i32 s6, s6, s5
	s_add_co_i32 s10, s10, s11
	v_and_b32_e32 v1, 0x3ff, v0
	s_wait_kmcnt 0x0
	s_and_b32 s3, s3, 0xffff
	s_lshr_b32 s5, s2, 16
	s_and_b32 s2, s2, 0xffff
	s_cmp_eq_u32 s8, 0
	v_bfe_u32 v2, v0, 10, 10
	s_cselect_b32 s8, ttmp9, s10
	v_bfe_u32 v0, v0, 20, 10
	v_mad_u32 v1, s8, s2, v1
	s_cselect_b32 s2, s4, s6
	s_cselect_b32 s4, s7, s9
	v_mad_u32 v5, s2, s5, v2
	v_mad_u32 v4, s4, s3, v0
	s_delay_alu instid0(VALU_DEP_3) | instskip(NEXT) | instid1(VALU_DEP_2)
	v_add_nc_u32_e32 v3, -4, v1
	v_dual_add_nc_u32 v0, -4, v5 :: v_dual_add_nc_u32 v2, -4, v4
	s_delay_alu instid0(VALU_DEP_2) | instskip(NEXT) | instid1(VALU_DEP_2)
	v_cmp_gt_u32_e32 vcc_lo, 0x2a0, v3
	v_cmp_gt_u32_e64 s2, 0x7e, v0
	s_delay_alu instid0(VALU_DEP_3) | instskip(SKIP_1) | instid1(SALU_CYCLE_1)
	v_cmp_gt_u32_e64 s3, 0x1ba, v2
	s_and_b32 s2, vcc_lo, s2
	s_and_b32 s2, s2, s3
	s_delay_alu instid0(SALU_CYCLE_1)
	s_and_saveexec_b32 s3, s2
	s_cbranch_execz .LBB0_2
; %bb.1:
	v_mul_lo_u32 v8, 0x2a8, v5
	s_load_b256 s[4:11], s[0:1], 0x0
	v_mul_lo_u32 v4, 0x163f0, v4
	v_mov_b32_e32 v5, 0
	s_load_b128 s[12:15], s[0:1], 0x20
	s_delay_alu instid0(VALU_DEP_3) | instskip(NEXT) | instid1(VALU_DEP_2)
	v_add_nc_u32_e32 v6, v1, v8
	v_dual_mov_b32 v7, v5 :: v_dual_add_nc_u32 v1, v4, v1
	v_add3_u32 v3, v4, v8, v3
	s_delay_alu instid0(VALU_DEP_3) | instskip(NEXT) | instid1(VALU_DEP_3)
	v_add_nc_u32_e32 v45, v6, v4
	v_add_nc_u64_e32 v[8:9], v[6:7], v[4:5]
	s_delay_alu instid0(VALU_DEP_4)
	v_mad_u32 v35, 0x2a8, v0, v1
	v_mad_u32 v42, 0x163f0, v2, v6
	s_wait_kmcnt 0x0
	s_clause 0x1
	global_load_b32 v0, v3, s[6:7] scale_offset
	global_load_b32 v1, v3, s[8:9] scale_offset
	v_dual_add_nc_u32 v18, -1, v45 :: v_dual_add_nc_u32 v24, -2, v45
	s_clause 0x1
	global_load_b32 v48, v45, s[6:7] offset:364480 scale_offset
	global_load_b32 v49, v45, s[8:9] offset:364480 scale_offset
	global_load_b32 v46, v18, s[6:7] scale_offset
	s_wait_xcnt 0x3
	v_lshlrev_b64_e32 v[2:3], 2, v[8:9]
	v_add_nc_u32_e32 v23, 0xfffffd58, v45
	v_add_nc_u32_e32 v37, 0xfffffab0, v45
	v_add_nc_u32_e32 v38, -3, v45
	v_add_nc_u32_e32 v39, 0xfffff808, v45
	v_add_nc_u32_e32 v40, 0xfffe9c10, v45
	;; [unrolled: 1-line block ×3, first 2 shown]
	v_add_nc_u64_e32 v[14:15], s[6:7], v[2:3]
	v_add_nc_u64_e32 v[16:17], s[8:9], v[2:3]
	v_add_nc_u32_e32 v44, 0xfffbd430, v45
	s_clause 0x6
	global_load_b128 v[6:9], v[14:15], off offset:4
	global_load_b32 v4, v45, s[6:7] offset:1093440 scale_offset
	global_load_b32 v3, v45, s[8:9] offset:1457920 scale_offset
	global_load_b32 v5, v45, s[8:9] offset:1093440 scale_offset
	global_load_b32 v19, v45, s[8:9] offset:728960 scale_offset
	global_load_b32 v50, v18, s[8:9] scale_offset
	global_load_b128 v[10:13], v[16:17], off offset:4
	s_clause 0x4
	global_load_b32 v51, v40, s[6:7] scale_offset
	global_load_b32 v52, v[14:15], off offset:2720
	global_load_b32 v20, v24, s[6:7] scale_offset
	global_load_b32 v21, v24, s[8:9] scale_offset
	global_load_b32 v53, v[16:17], off offset:2720
	s_clause 0x1
	global_load_b32 v54, v23, s[6:7] scale_offset
	global_load_b32 v55, v23, s[8:9] scale_offset
	s_clause 0x2
	global_load_b32 v22, v38, s[6:7] scale_offset
	; meta instruction
	; meta instruction
	; meta instruction
	global_load_b32 v23, v38, s[8:9] scale_offset
	global_load_b32 v25, v[16:17], off offset:5440
	s_clause 0x1
	global_load_b32 v24, v[14:15], off offset:5440
	global_load_b32 v26, v[14:15], off offset:8160
	;; [unrolled: 1-line block ×3, first 2 shown]
	s_clause 0x1
	global_load_b32 v28, v37, s[6:7] scale_offset
	global_load_b32 v29, v37, s[8:9] scale_offset
	global_load_b32 v30, v[14:15], off offset:10880
	global_load_b32 v31, v[16:17], off offset:10880
	s_clause 0x2
	global_load_b32 v32, v39, s[6:7] scale_offset
	global_load_b32 v33, v39, s[8:9] scale_offset
	;; [unrolled: 1-line block ×3, first 2 shown]
	s_clause 0x1
	global_load_b32 v18, v45, s[6:7] offset:728960 scale_offset
	global_load_b32 v34, v45, s[8:9] scale_offset
	s_clause 0x1
	global_load_b32 v36, v35, s[6:7] scale_offset
	; meta instruction
	; meta instruction
	;; [unrolled: 1-line block ×6, first 2 shown]
	global_load_b32 v37, v35, s[8:9] scale_offset
	s_clause 0x1
	global_load_b32 v14, v43, s[6:7] scale_offset
	global_load_b32 v15, v43, s[8:9] scale_offset
	s_clause 0x3
	global_load_b32 v16, v45, s[6:7] scale_offset
	global_load_b32 v2, v45, s[6:7] offset:1457920 scale_offset
	global_load_b32 v38, v44, s[6:7] scale_offset
	global_load_b32 v39, v44, s[8:9] scale_offset
	s_clause 0x1
	global_load_b32 v40, v42, s[6:7] scale_offset
	global_load_b32 v41, v42, s[8:9] scale_offset
	s_wait_xcnt 0x1
	s_load_b64 s[6:7], s[0:1], 0x30
	s_wait_loadcnt 0x20
	v_dual_add_f32 v17, v10, v50 :: v_dual_mov_b32 v10, v7
	v_dual_mov_b32 v7, v12 :: v_dual_mov_b32 v12, v9
	s_wait_loadcnt 0x1c
	s_delay_alu instid0(VALU_DEP_2) | instskip(NEXT) | instid1(VALU_DEP_2)
	v_pk_add_f32 v[10:11], v[10:11], v[20:21]
	v_pk_add_f32 v[0:1], v[12:13], v[0:1]
	v_add_f32_e32 v6, v6, v46
	s_clause 0x2
	global_load_b32 v42, v45, s[10:11] scale_offset
	global_load_b32 v44, v45, s[4:5] scale_offset
	;; [unrolled: 1-line block ×3, first 2 shown]
	s_wait_kmcnt 0x0
	s_clause 0x1
	s_load_b128 s[0:3], s[6:7], 0x0
	s_load_b32 s4, s[6:7], 0x10
	s_wait_loadcnt 0x12
	v_pk_add_f32 v[0:1], v[0:1], v[30:31]
	v_dual_add_f32 v35, v6, v52 :: v_dual_mov_b32 v6, v8
	v_add_f32_e32 v8, v17, v53
	s_wait_loadcnt 0xb
	s_delay_alu instid0(VALU_DEP_3) | instskip(NEXT) | instid1(VALU_DEP_3)
	v_pk_add_f32 v[0:1], v[0:1], v[36:37]
	v_add_f32_e32 v17, v35, v54
	v_pk_add_f32 v[6:7], v[6:7], v[22:23]
	v_add_f32_e32 v20, v8, v55
	v_pk_add_f32 v[8:9], v[10:11], v[24:25]
	s_wait_loadcnt 0x7
	v_pk_add_f32 v[0:1], v[0:1], v[2:3]
	v_add_f32_e32 v10, v17, v48
	v_pk_add_f32 v[6:7], v[6:7], v[26:27]
	v_add_f32_e32 v11, v20, v49
	v_pk_add_f32 v[8:9], v[8:9], v[28:29]
	s_wait_loadcnt 0x3
	v_pk_add_f32 v[0:1], v[0:1], v[40:41]
	v_add_f32_e32 v35, v10, v51
	v_pk_add_f32 v[6:7], v[6:7], v[32:33]
	s_wait_kmcnt 0x0
	v_mov_b64_e32 v[46:47], s[0:1]
	v_add_f32_e32 v17, v11, v56
	v_pk_add_f32 v[8:9], v[8:9], v[18:19]
	s_mov_b32 s0, s3
	v_pk_add_f32 v[4:5], v[6:7], v[4:5]
	s_delay_alu instid0(VALU_DEP_4) | instskip(NEXT) | instid1(VALU_DEP_3)
	v_pk_mul_f32 v[10:11], v[46:47], v[34:35]
	v_pk_add_f32 v[6:7], v[8:9], v[14:15]
	s_delay_alu instid0(VALU_DEP_3) | instskip(NEXT) | instid1(VALU_DEP_3)
	v_pk_add_f32 v[2:3], v[4:5], v[38:39]
	v_pk_fma_f32 v[8:9], v[46:47], v[16:17], v[10:11] op_sel:[0,0,1] op_sel_hi:[1,1,0]
	v_mov_b32_e32 v17, v34
	s_delay_alu instid0(VALU_DEP_2) | instskip(NEXT) | instid1(VALU_DEP_1)
	v_pk_fma_f32 v[4:5], s[2:3], v[6:7], v[8:9] op_sel_hi:[0,1,1]
	v_pk_fma_f32 v[2:3], s[0:1], v[2:3], v[4:5] op_sel_hi:[0,1,1]
	s_delay_alu instid0(VALU_DEP_1) | instskip(SKIP_2) | instid1(VALU_DEP_1)
	v_pk_fma_f32 v[0:1], s[4:5], v[0:1], v[2:3] op_sel_hi:[0,1,1]
	s_wait_loadcnt 0x0
	v_pk_fma_f32 v[2:3], v[16:17], 2.0, v[42:43] op_sel_hi:[1,0,1] neg_lo:[0,0,1] neg_hi:[0,0,1]
	v_pk_fma_f32 v[0:1], v[44:45], v[0:1], v[2:3] op_sel_hi:[0,1,1]
	s_delay_alu instid0(VALU_DEP_1)
	v_mul_f32_e32 v2, v0, v1
	s_clause 0x2
	global_store_b32 v45, v1, s[12:13] scale_offset
	global_store_b32 v45, v0, s[10:11] scale_offset
	;; [unrolled: 1-line block ×3, first 2 shown]
.LBB0_2:
	s_endpgm
	.section	.rodata,"a",@progbits
	.p2align	6, 0x0
	.amdhsa_kernel _Z4rtm8PKfS0_S0_PfS1_S1_S0_m
		.amdhsa_group_segment_fixed_size 0
		.amdhsa_private_segment_fixed_size 0
		.amdhsa_kernarg_size 320
		.amdhsa_user_sgpr_count 2
		.amdhsa_user_sgpr_dispatch_ptr 0
		.amdhsa_user_sgpr_queue_ptr 0
		.amdhsa_user_sgpr_kernarg_segment_ptr 1
		.amdhsa_user_sgpr_dispatch_id 0
		.amdhsa_user_sgpr_kernarg_preload_length 0
		.amdhsa_user_sgpr_kernarg_preload_offset 0
		.amdhsa_user_sgpr_private_segment_size 0
		.amdhsa_wavefront_size32 1
		.amdhsa_uses_dynamic_stack 0
		.amdhsa_enable_private_segment 0
		.amdhsa_system_sgpr_workgroup_id_x 1
		.amdhsa_system_sgpr_workgroup_id_y 1
		.amdhsa_system_sgpr_workgroup_id_z 1
		.amdhsa_system_sgpr_workgroup_info 0
		.amdhsa_system_vgpr_workitem_id 2
		.amdhsa_next_free_vgpr 57
		.amdhsa_next_free_sgpr 16
		.amdhsa_named_barrier_count 0
		.amdhsa_reserve_vcc 1
		.amdhsa_float_round_mode_32 0
		.amdhsa_float_round_mode_16_64 0
		.amdhsa_float_denorm_mode_32 3
		.amdhsa_float_denorm_mode_16_64 3
		.amdhsa_fp16_overflow 0
		.amdhsa_memory_ordered 1
		.amdhsa_forward_progress 1
		.amdhsa_inst_pref_size 12
		.amdhsa_round_robin_scheduling 0
		.amdhsa_exception_fp_ieee_invalid_op 0
		.amdhsa_exception_fp_denorm_src 0
		.amdhsa_exception_fp_ieee_div_zero 0
		.amdhsa_exception_fp_ieee_overflow 0
		.amdhsa_exception_fp_ieee_underflow 0
		.amdhsa_exception_fp_ieee_inexact 0
		.amdhsa_exception_int_div_zero 0
	.end_amdhsa_kernel
	.text
.Lfunc_end0:
	.size	_Z4rtm8PKfS0_S0_PfS1_S1_S0_m, .Lfunc_end0-_Z4rtm8PKfS0_S0_PfS1_S1_S0_m
                                        ; -- End function
	.set _Z4rtm8PKfS0_S0_PfS1_S1_S0_m.num_vgpr, 57
	.set _Z4rtm8PKfS0_S0_PfS1_S1_S0_m.num_agpr, 0
	.set _Z4rtm8PKfS0_S0_PfS1_S1_S0_m.numbered_sgpr, 16
	.set _Z4rtm8PKfS0_S0_PfS1_S1_S0_m.num_named_barrier, 0
	.set _Z4rtm8PKfS0_S0_PfS1_S1_S0_m.private_seg_size, 0
	.set _Z4rtm8PKfS0_S0_PfS1_S1_S0_m.uses_vcc, 1
	.set _Z4rtm8PKfS0_S0_PfS1_S1_S0_m.uses_flat_scratch, 0
	.set _Z4rtm8PKfS0_S0_PfS1_S1_S0_m.has_dyn_sized_stack, 0
	.set _Z4rtm8PKfS0_S0_PfS1_S1_S0_m.has_recursion, 0
	.set _Z4rtm8PKfS0_S0_PfS1_S1_S0_m.has_indirect_call, 0
	.section	.AMDGPU.csdata,"",@progbits
; Kernel info:
; codeLenInByte = 1480
; TotalNumSgprs: 18
; NumVgprs: 57
; ScratchSize: 0
; MemoryBound: 0
; FloatMode: 240
; IeeeMode: 1
; LDSByteSize: 0 bytes/workgroup (compile time only)
; SGPRBlocks: 0
; VGPRBlocks: 3
; NumSGPRsForWavesPerEU: 18
; NumVGPRsForWavesPerEU: 57
; NamedBarCnt: 0
; Occupancy: 16
; WaveLimiterHint : 1
; COMPUTE_PGM_RSRC2:SCRATCH_EN: 0
; COMPUTE_PGM_RSRC2:USER_SGPR: 2
; COMPUTE_PGM_RSRC2:TRAP_HANDLER: 0
; COMPUTE_PGM_RSRC2:TGID_X_EN: 1
; COMPUTE_PGM_RSRC2:TGID_Y_EN: 1
; COMPUTE_PGM_RSRC2:TGID_Z_EN: 1
; COMPUTE_PGM_RSRC2:TIDIG_COMP_CNT: 2
	.text
	.p2alignl 7, 3214868480
	.fill 96, 4, 3214868480
	.section	.AMDGPU.gpr_maximums,"",@progbits
	.set amdgpu.max_num_vgpr, 0
	.set amdgpu.max_num_agpr, 0
	.set amdgpu.max_num_sgpr, 0
	.text
	.type	__hip_cuid_1d668f760b25de0d,@object ; @__hip_cuid_1d668f760b25de0d
	.section	.bss,"aw",@nobits
	.globl	__hip_cuid_1d668f760b25de0d
__hip_cuid_1d668f760b25de0d:
	.byte	0                               ; 0x0
	.size	__hip_cuid_1d668f760b25de0d, 1

	.ident	"AMD clang version 22.0.0git (https://github.com/RadeonOpenCompute/llvm-project roc-7.2.4 26084 f58b06dce1f9c15707c5f808fd002e18c2accf7e)"
	.section	".note.GNU-stack","",@progbits
	.addrsig
	.addrsig_sym __hip_cuid_1d668f760b25de0d
	.amdgpu_metadata
---
amdhsa.kernels:
  - .args:
      - .actual_access:  read_only
        .address_space:  global
        .offset:         0
        .size:           8
        .value_kind:     global_buffer
      - .actual_access:  read_only
        .address_space:  global
        .offset:         8
        .size:           8
        .value_kind:     global_buffer
      - .actual_access:  read_only
        .address_space:  global
        .offset:         16
        .size:           8
        .value_kind:     global_buffer
      - .address_space:  global
        .offset:         24
        .size:           8
        .value_kind:     global_buffer
      - .address_space:  global
        .offset:         32
        .size:           8
        .value_kind:     global_buffer
      - .actual_access:  write_only
        .address_space:  global
        .offset:         40
        .size:           8
        .value_kind:     global_buffer
      - .actual_access:  read_only
        .address_space:  global
        .offset:         48
        .size:           8
        .value_kind:     global_buffer
      - .offset:         56
        .size:           8
        .value_kind:     by_value
      - .offset:         64
        .size:           4
        .value_kind:     hidden_block_count_x
      - .offset:         68
        .size:           4
        .value_kind:     hidden_block_count_y
      - .offset:         72
        .size:           4
        .value_kind:     hidden_block_count_z
      - .offset:         76
        .size:           2
        .value_kind:     hidden_group_size_x
      - .offset:         78
        .size:           2
        .value_kind:     hidden_group_size_y
      - .offset:         80
        .size:           2
        .value_kind:     hidden_group_size_z
      - .offset:         82
        .size:           2
        .value_kind:     hidden_remainder_x
      - .offset:         84
        .size:           2
        .value_kind:     hidden_remainder_y
      - .offset:         86
        .size:           2
        .value_kind:     hidden_remainder_z
      - .offset:         104
        .size:           8
        .value_kind:     hidden_global_offset_x
      - .offset:         112
        .size:           8
        .value_kind:     hidden_global_offset_y
      - .offset:         120
        .size:           8
        .value_kind:     hidden_global_offset_z
      - .offset:         128
        .size:           2
        .value_kind:     hidden_grid_dims
    .group_segment_fixed_size: 0
    .kernarg_segment_align: 8
    .kernarg_segment_size: 320
    .language:       OpenCL C
    .language_version:
      - 2
      - 0
    .max_flat_workgroup_size: 1024
    .name:           _Z4rtm8PKfS0_S0_PfS1_S1_S0_m
    .private_segment_fixed_size: 0
    .sgpr_count:     18
    .sgpr_spill_count: 0
    .symbol:         _Z4rtm8PKfS0_S0_PfS1_S1_S0_m.kd
    .uniform_work_group_size: 1
    .uses_dynamic_stack: false
    .vgpr_count:     57
    .vgpr_spill_count: 0
    .wavefront_size: 32
amdhsa.target:   amdgcn-amd-amdhsa--gfx1250
amdhsa.version:
  - 1
  - 2
...

	.end_amdgpu_metadata
